;; amdgpu-corpus repo=zjin-lcf/HeCBench kind=compiled arch=gfx90a opt=O3
	.text
	.amdgcn_target "amdgcn-amd-amdhsa--gfx90a"
	.amdhsa_code_object_version 6
	.protected	_Z9hypterm_1PdS_S_S_S_PKdS1_S1_S1_S1_S1_S1_S1_dddiii ; -- Begin function _Z9hypterm_1PdS_S_S_S_PKdS1_S1_S1_S1_S1_S1_S1_dddiii
	.globl	_Z9hypterm_1PdS_S_S_S_PKdS1_S1_S1_S1_S1_S1_S1_dddiii
	.p2align	8
	.type	_Z9hypterm_1PdS_S_S_S_PKdS1_S1_S1_S1_S1_S1_S1_dddiii,@function
_Z9hypterm_1PdS_S_S_S_PKdS1_S1_S1_S1_S1_S1_S1_dddiii: ; @_Z9hypterm_1PdS_S_S_S_PKdS1_S1_S1_S1_S1_S1_S1_dddiii
; %bb.0:
	s_load_dwordx2 s[0:1], s[4:5], 0x9c
	s_load_dwordx2 s[16:17], s[4:5], 0x84
	v_and_b32_e32 v1, 0x3ff, v0
	s_waitcnt lgkmcnt(0)
	s_lshr_b32 s2, s0, 16
	s_and_b32 s0, s0, 0xffff
	s_mul_i32 s6, s6, s0
	s_and_b32 s1, s1, 0xffff
	s_max_i32 s0, s6, 0
	s_mul_i32 s7, s7, s2
	v_add_u32_e32 v2, s0, v1
	s_max_i32 s0, s7, 0
	v_bfe_u32 v1, v0, 10, 10
	s_mul_i32 s8, s8, s1
	v_add_u32_e32 v4, s0, v1
	s_max_i32 s0, s8, 0
	v_bfe_u32 v0, v0, 20, 10
	v_add_u32_e32 v0, s0, v0
	v_min3_u32 v1, v2, v4, v0
	v_cmp_lt_u32_e32 vcc, 3, v1
	s_add_i32 s0, s17, -5
	v_max3_i32 v1, v2, v4, v0
	v_cmp_ge_i32_e64 s[0:1], s0, v1
	s_and_b64 s[0:1], s[0:1], vcc
	s_and_saveexec_b64 s[2:3], s[0:1]
	s_cbranch_execz .LBB0_2
; %bb.1:
	s_load_dwordx4 s[0:3], s[4:5], 0x40
	s_load_dwordx8 s[8:15], s[4:5], 0x20
	v_mad_u64_u32 v[0:1], s[6:7], v0, s16, v[4:5]
	v_mad_u64_u32 v[0:1], s[6:7], v0, s17, v[2:3]
	v_ashrrev_i32_e32 v1, 31, v0
	v_lshlrev_b64 v[40:41], 3, v[0:1]
	s_waitcnt lgkmcnt(0)
	v_mov_b32_e32 v1, s11
	v_add_co_u32_e32 v0, vcc, s10, v40
	v_addc_co_u32_e32 v1, vcc, v1, v41, vcc
	global_load_dwordx4 v[32:35], v[0:1], off offset:24
	global_load_dwordx4 v[20:23], v[0:1], off offset:8
	global_load_dwordx4 v[28:31], v[0:1], off offset:-16
	global_load_dwordx4 v[36:39], v[0:1], off offset:-32
	v_mov_b32_e32 v0, s3
	v_add_co_u32_e32 v4, vcc, s2, v40
	v_addc_co_u32_e32 v5, vcc, v0, v41, vcc
	global_load_dwordx4 v[12:15], v[4:5], off offset:-16
	global_load_dwordx4 v[8:11], v[4:5], off offset:8
	global_load_dwordx4 v[0:3], v[4:5], off offset:-32
	s_load_dwordx8 s[16:23], s[4:5], 0x0
	s_load_dwordx4 s[24:27], s[4:5], 0x60
	v_mov_b32_e32 v19, s13
	global_load_dwordx4 v[4:7], v[4:5], off offset:24
	s_brev_b32 s4, 5
	s_waitcnt lgkmcnt(0)
	v_mov_b32_e32 v16, s17
	v_add_co_u32_e32 v52, vcc, s16, v40
	v_addc_co_u32_e32 v53, vcc, v16, v41, vcc
	v_mov_b32_e32 v17, s25
	v_add_co_u32_e32 v44, vcc, s24, v40
	v_addc_co_u32_e32 v45, vcc, v17, v41, vcc
	v_mov_b32_e32 v18, s19
	v_add_co_u32_e32 v42, vcc, s18, v40
	v_addc_co_u32_e32 v43, vcc, v18, v41, vcc
	v_add_co_u32_e32 v48, vcc, s12, v40
	v_addc_co_u32_e32 v49, vcc, v19, v41, vcc
	global_load_dwordx4 v[16:19], v[44:45], off offset:24
	global_load_dwordx4 v[24:27], v[44:45], off offset:8
	s_mov_b32 s5, 0x3fc99999
	s_mov_b32 s7, 0x3fe99999
	;; [unrolled: 1-line block ×3, first 2 shown]
	s_brev_b32 s2, 6
	s_mov_b32 s3, 0x3fa374bc
	s_mov_b32 s10, 2.0
	s_mov_b32 s11, 0xbf6cac08
	s_waitcnt vmcnt(7)
	v_add_f64 v[46:47], v[20:21], -v[30:31]
	v_add_f64 v[50:51], v[22:23], -v[28:29]
	s_waitcnt vmcnt(6)
	v_add_f64 v[54:55], v[32:33], -v[38:39]
	v_add_f64 v[60:61], v[34:35], -v[36:37]
	s_waitcnt vmcnt(5)
	v_mul_f64 v[30:31], v[30:31], v[14:15]
	v_mul_f64 v[28:29], v[28:29], v[12:13]
	s_waitcnt vmcnt(4)
	v_fma_f64 v[56:57], v[20:21], v[8:9], -v[30:31]
	v_fma_f64 v[58:59], v[22:23], v[10:11], -v[28:29]
	global_load_dwordx4 v[28:31], v[44:45], off offset:-16
	global_load_dwordx4 v[20:23], v[44:45], off offset:-32
	s_waitcnt vmcnt(5)
	v_mul_f64 v[38:39], v[38:39], v[2:3]
	v_mul_f64 v[36:37], v[36:37], v[0:1]
	s_waitcnt vmcnt(4)
	v_fma_f64 v[38:39], v[32:33], v[4:5], -v[38:39]
	v_mul_f64 v[44:45], v[50:51], s[4:5]
	v_fma_f64 v[36:37], v[34:35], v[6:7], -v[36:37]
	v_fma_f64 v[62:63], v[46:47], s[6:7], -v[44:45]
	global_load_dwordx4 v[32:35], v[48:49], off offset:8
	v_fmac_f64_e32 v[62:63], s[2:3], v[54:55]
	v_fmac_f64_e32 v[62:63], s[10:11], v[60:61]
	v_mul_f64 v[54:55], -v[62:63], s[26:27]
	global_store_dwordx2 v[52:53], v[54:55], off
	v_mov_b32_e32 v52, s15
	s_waitcnt vmcnt(3)
	v_add_f64 v[44:45], v[24:25], -v[30:31]
	s_waitcnt vmcnt(2)
	v_add_f64 v[50:51], v[16:17], -v[22:23]
	v_add_f64 v[50:51], v[38:39], v[50:51]
	v_add_f64 v[38:39], v[18:19], -v[20:21]
	v_add_f64 v[44:45], v[56:57], v[44:45]
	v_add_f64 v[56:57], v[36:37], v[38:39]
	global_load_dwordx4 v[36:39], v[48:49], off offset:-16
	v_add_f64 v[46:47], v[26:27], -v[28:29]
	v_add_f64 v[46:47], v[58:59], v[46:47]
	v_mul_f64 v[46:47], v[46:47], s[4:5]
	v_fma_f64 v[58:59], v[44:45], s[6:7], -v[46:47]
	global_load_dwordx4 v[44:47], v[48:49], off offset:-32
	v_fmac_f64_e32 v[58:59], s[2:3], v[50:51]
	global_load_dwordx4 v[48:51], v[48:49], off offset:24
	v_fmac_f64_e32 v[58:59], s[10:11], v[56:57]
	v_add_co_u32_e32 v56, vcc, s14, v40
	v_addc_co_u32_e32 v57, vcc, v52, v41, vcc
	global_load_dwordx4 v[52:55], v[56:57], off offset:-16
	v_mul_f64 v[58:59], -v[58:59], s[26:27]
	global_store_dwordx2 v[42:43], v[58:59], off
	s_waitcnt vmcnt(4)
	v_mul_f64 v[36:37], v[12:13], v[36:37]
	v_mul_f64 v[38:39], v[14:15], v[38:39]
	v_fma_f64 v[34:35], v[10:11], v[34:35], -v[36:37]
	v_fma_f64 v[32:33], v[8:9], v[32:33], -v[38:39]
	v_mul_f64 v[34:35], v[34:35], s[4:5]
	v_fma_f64 v[42:43], v[32:33], s[6:7], -v[34:35]
	global_load_dwordx4 v[32:35], v[56:57], off offset:8
	s_waitcnt vmcnt(4)
	v_mul_f64 v[36:37], v[2:3], v[46:47]
	s_waitcnt vmcnt(3)
	v_fma_f64 v[36:37], v[4:5], v[48:49], -v[36:37]
	v_fmac_f64_e32 v[42:43], s[2:3], v[36:37]
	global_load_dwordx4 v[36:39], v[56:57], off offset:-32
	global_load_dwordx4 v[46:49], v[56:57], off offset:24
	v_mul_f64 v[44:45], v[0:1], v[44:45]
	v_fma_f64 v[44:45], v[6:7], v[50:51], -v[44:45]
	v_fmac_f64_e32 v[42:43], s[10:11], v[44:45]
	v_mov_b32_e32 v45, s21
	v_add_co_u32_e32 v44, vcc, s20, v40
	v_mul_f64 v[42:43], -v[42:43], s[26:27]
	v_addc_co_u32_e32 v45, vcc, v45, v41, vcc
	global_store_dwordx2 v[44:45], v[42:43], off
	v_mov_b32_e32 v42, s1
	v_add_co_u32_e32 v58, vcc, s0, v40
	v_addc_co_u32_e32 v59, vcc, v42, v41, vcc
	s_waitcnt vmcnt(5)
	v_mul_f64 v[56:57], v[12:13], v[52:53]
	global_load_dwordx4 v[42:45], v[58:59], off offset:-16
	global_load_dwordx4 v[50:53], v[58:59], off offset:8
	v_mul_f64 v[54:55], v[14:15], v[54:55]
	s_waitcnt vmcnt(5)
	v_fma_f64 v[34:35], v[10:11], v[34:35], -v[56:57]
	v_fma_f64 v[32:33], v[8:9], v[32:33], -v[54:55]
	v_mul_f64 v[34:35], v[34:35], s[4:5]
	v_fma_f64 v[60:61], v[32:33], s[6:7], -v[34:35]
	s_waitcnt vmcnt(4)
	v_mul_f64 v[32:33], v[2:3], v[38:39]
	s_waitcnt vmcnt(3)
	v_fma_f64 v[32:33], v[4:5], v[46:47], -v[32:33]
	v_fmac_f64_e32 v[60:61], s[2:3], v[32:33]
	global_load_dwordx4 v[32:35], v[58:59], off offset:-32
	global_load_dwordx4 v[54:57], v[58:59], off offset:24
	v_mul_f64 v[36:37], v[0:1], v[36:37]
	v_fma_f64 v[36:37], v[6:7], v[48:49], -v[36:37]
	v_fmac_f64_e32 v[60:61], s[10:11], v[36:37]
	v_mov_b32_e32 v39, s23
	v_add_co_u32_e32 v38, vcc, s22, v40
	v_mul_f64 v[36:37], -v[60:61], s[26:27]
	v_addc_co_u32_e32 v39, vcc, v39, v41, vcc
	global_store_dwordx2 v[38:39], v[36:37], off
	s_waitcnt vmcnt(4)
	v_mul_f64 v[36:37], v[14:15], v[44:45]
	v_mul_f64 v[14:15], v[14:15], v[30:31]
	s_waitcnt vmcnt(3)
	v_fma_f64 v[36:37], v[8:9], v[50:51], -v[36:37]
	v_fma_f64 v[8:9], v[8:9], v[24:25], -v[14:15]
	v_mul_f64 v[14:15], v[12:13], v[42:43]
	v_mul_f64 v[12:13], v[12:13], v[28:29]
	v_fma_f64 v[14:15], v[10:11], v[52:53], -v[14:15]
	v_fma_f64 v[10:11], v[10:11], v[26:27], -v[12:13]
	v_add_f64 v[10:11], v[10:11], v[14:15]
	v_add_f64 v[8:9], v[8:9], v[36:37]
	v_mul_f64 v[10:11], v[10:11], s[4:5]
	v_fma_f64 v[8:9], v[8:9], s[6:7], -v[10:11]
	s_waitcnt vmcnt(2)
	v_mul_f64 v[10:11], v[2:3], v[34:35]
	v_mul_f64 v[2:3], v[2:3], v[22:23]
	s_waitcnt vmcnt(1)
	v_fma_f64 v[10:11], v[4:5], v[54:55], -v[10:11]
	v_fma_f64 v[2:3], v[4:5], v[16:17], -v[2:3]
	v_add_f64 v[2:3], v[2:3], v[10:11]
	v_fmac_f64_e32 v[8:9], s[2:3], v[2:3]
	v_mul_f64 v[2:3], v[0:1], v[32:33]
	v_mul_f64 v[0:1], v[0:1], v[20:21]
	v_fma_f64 v[2:3], v[6:7], v[56:57], -v[2:3]
	v_fma_f64 v[0:1], v[6:7], v[18:19], -v[0:1]
	v_add_f64 v[0:1], v[0:1], v[2:3]
	v_fmac_f64_e32 v[8:9], s[10:11], v[0:1]
	v_mov_b32_e32 v3, s9
	v_add_co_u32_e32 v2, vcc, s8, v40
	v_mul_f64 v[0:1], -v[8:9], s[26:27]
	v_addc_co_u32_e32 v3, vcc, v3, v41, vcc
	global_store_dwordx2 v[2:3], v[0:1], off
.LBB0_2:
	s_endpgm
	.section	.rodata,"a",@progbits
	.p2align	6, 0x0
	.amdhsa_kernel _Z9hypterm_1PdS_S_S_S_PKdS1_S1_S1_S1_S1_S1_S1_dddiii
		.amdhsa_group_segment_fixed_size 0
		.amdhsa_private_segment_fixed_size 0
		.amdhsa_kernarg_size 400
		.amdhsa_user_sgpr_count 6
		.amdhsa_user_sgpr_private_segment_buffer 1
		.amdhsa_user_sgpr_dispatch_ptr 0
		.amdhsa_user_sgpr_queue_ptr 0
		.amdhsa_user_sgpr_kernarg_segment_ptr 1
		.amdhsa_user_sgpr_dispatch_id 0
		.amdhsa_user_sgpr_flat_scratch_init 0
		.amdhsa_user_sgpr_kernarg_preload_length 0
		.amdhsa_user_sgpr_kernarg_preload_offset 0
		.amdhsa_user_sgpr_private_segment_size 0
		.amdhsa_uses_dynamic_stack 0
		.amdhsa_system_sgpr_private_segment_wavefront_offset 0
		.amdhsa_system_sgpr_workgroup_id_x 1
		.amdhsa_system_sgpr_workgroup_id_y 1
		.amdhsa_system_sgpr_workgroup_id_z 1
		.amdhsa_system_sgpr_workgroup_info 0
		.amdhsa_system_vgpr_workitem_id 2
		.amdhsa_next_free_vgpr 64
		.amdhsa_next_free_sgpr 28
		.amdhsa_accum_offset 64
		.amdhsa_reserve_vcc 1
		.amdhsa_reserve_flat_scratch 0
		.amdhsa_float_round_mode_32 0
		.amdhsa_float_round_mode_16_64 0
		.amdhsa_float_denorm_mode_32 3
		.amdhsa_float_denorm_mode_16_64 3
		.amdhsa_dx10_clamp 1
		.amdhsa_ieee_mode 1
		.amdhsa_fp16_overflow 0
		.amdhsa_tg_split 0
		.amdhsa_exception_fp_ieee_invalid_op 0
		.amdhsa_exception_fp_denorm_src 0
		.amdhsa_exception_fp_ieee_div_zero 0
		.amdhsa_exception_fp_ieee_overflow 0
		.amdhsa_exception_fp_ieee_underflow 0
		.amdhsa_exception_fp_ieee_inexact 0
		.amdhsa_exception_int_div_zero 0
	.end_amdhsa_kernel
	.text
.Lfunc_end0:
	.size	_Z9hypterm_1PdS_S_S_S_PKdS1_S1_S1_S1_S1_S1_S1_dddiii, .Lfunc_end0-_Z9hypterm_1PdS_S_S_S_PKdS1_S1_S1_S1_S1_S1_S1_dddiii
                                        ; -- End function
	.section	.AMDGPU.csdata,"",@progbits
; Kernel info:
; codeLenInByte = 1312
; NumSgprs: 32
; NumVgprs: 64
; NumAgprs: 0
; TotalNumVgprs: 64
; ScratchSize: 0
; MemoryBound: 0
; FloatMode: 240
; IeeeMode: 1
; LDSByteSize: 0 bytes/workgroup (compile time only)
; SGPRBlocks: 3
; VGPRBlocks: 7
; NumSGPRsForWavesPerEU: 32
; NumVGPRsForWavesPerEU: 64
; AccumOffset: 64
; Occupancy: 8
; WaveLimiterHint : 0
; COMPUTE_PGM_RSRC2:SCRATCH_EN: 0
; COMPUTE_PGM_RSRC2:USER_SGPR: 6
; COMPUTE_PGM_RSRC2:TRAP_HANDLER: 0
; COMPUTE_PGM_RSRC2:TGID_X_EN: 1
; COMPUTE_PGM_RSRC2:TGID_Y_EN: 1
; COMPUTE_PGM_RSRC2:TGID_Z_EN: 1
; COMPUTE_PGM_RSRC2:TIDIG_COMP_CNT: 2
; COMPUTE_PGM_RSRC3_GFX90A:ACCUM_OFFSET: 15
; COMPUTE_PGM_RSRC3_GFX90A:TG_SPLIT: 0
	.text
	.protected	_Z9hypterm_2PdS_S_S_S_PKdS1_S1_S1_S1_S1_S1_S1_dddiii ; -- Begin function _Z9hypterm_2PdS_S_S_S_PKdS1_S1_S1_S1_S1_S1_S1_dddiii
	.globl	_Z9hypterm_2PdS_S_S_S_PKdS1_S1_S1_S1_S1_S1_S1_dddiii
	.p2align	8
	.type	_Z9hypterm_2PdS_S_S_S_PKdS1_S1_S1_S1_S1_S1_S1_dddiii,@function
_Z9hypterm_2PdS_S_S_S_PKdS1_S1_S1_S1_S1_S1_S1_dddiii: ; @_Z9hypterm_2PdS_S_S_S_PKdS1_S1_S1_S1_S1_S1_S1_dddiii
; %bb.0:
	s_load_dwordx2 s[0:1], s[4:5], 0x9c
	s_load_dwordx2 s[28:29], s[4:5], 0x84
	v_and_b32_e32 v1, 0x3ff, v0
	s_waitcnt lgkmcnt(0)
	s_lshr_b32 s2, s0, 16
	s_and_b32 s0, s0, 0xffff
	s_mul_i32 s6, s6, s0
	s_and_b32 s1, s1, 0xffff
	s_max_i32 s0, s6, 0
	s_mul_i32 s7, s7, s2
	v_add_u32_e32 v2, s0, v1
	s_max_i32 s0, s7, 0
	v_bfe_u32 v1, v0, 10, 10
	s_mul_i32 s8, s8, s1
	v_add_u32_e32 v3, s0, v1
	s_max_i32 s0, s8, 0
	v_bfe_u32 v0, v0, 20, 10
	v_add_u32_e32 v0, s0, v0
	v_min3_u32 v1, v2, v3, v0
	v_cmp_lt_u32_e32 vcc, 3, v1
	s_add_i32 s0, s29, -5
	v_max3_i32 v1, v2, v3, v0
	v_cmp_ge_i32_e64 s[0:1], s0, v1
	s_and_b64 s[0:1], s[0:1], vcc
	s_and_saveexec_b64 s[2:3], s[0:1]
	s_cbranch_execz .LBB1_2
; %bb.1:
	v_mul_lo_u32 v52, v0, s28
	s_load_dwordx8 s[16:23], s[4:5], 0x0
	s_load_dwordx8 s[8:15], s[4:5], 0x20
	v_add_u32_e32 v22, v52, v3
	v_mad_u64_u32 v[0:1], s[0:1], v22, s29, v[2:3]
	v_add_u32_e32 v4, s29, v0
	v_ashrrev_i32_e32 v5, 31, v4
	v_add_u32_e32 v6, -1, v22
	v_lshlrev_b64 v[4:5], 3, v[4:5]
	v_mad_u64_u32 v[6:7], s[0:1], v6, s29, v[2:3]
	s_waitcnt lgkmcnt(0)
	v_mov_b32_e32 v1, s13
	v_add_co_u32_e32 v12, vcc, s12, v4
	v_ashrrev_i32_e32 v7, 31, v6
	v_add_u32_e32 v8, 2, v22
	v_addc_co_u32_e32 v13, vcc, v1, v5, vcc
	v_lshlrev_b64 v[6:7], 3, v[6:7]
	v_mad_u64_u32 v[8:9], s[0:1], v8, s29, v[2:3]
	v_add_co_u32_e32 v14, vcc, s12, v6
	v_ashrrev_i32_e32 v9, 31, v8
	v_add_u32_e32 v10, -2, v22
	v_addc_co_u32_e32 v15, vcc, v1, v7, vcc
	v_lshlrev_b64 v[8:9], 3, v[8:9]
	v_mad_u64_u32 v[10:11], s[0:1], v10, s29, v[2:3]
	v_add_co_u32_e32 v16, vcc, s12, v8
	v_ashrrev_i32_e32 v11, 31, v10
	v_addc_co_u32_e32 v17, vcc, v1, v9, vcc
	v_lshlrev_b64 v[10:11], 3, v[10:11]
	v_add_co_u32_e32 v18, vcc, s12, v10
	v_addc_co_u32_e32 v19, vcc, v1, v11, vcc
	global_load_dwordx2 v[36:37], v[12:13], off
	global_load_dwordx2 v[38:39], v[14:15], off
	;; [unrolled: 1-line block ×4, first 2 shown]
	v_add_u32_e32 v12, 3, v22
	v_add_u32_e32 v14, -3, v22
	v_mad_u64_u32 v[12:13], s[0:1], v12, s29, v[2:3]
	v_mad_u64_u32 v[14:15], s[0:1], v14, s29, v[2:3]
	v_ashrrev_i32_e32 v13, 31, v12
	v_ashrrev_i32_e32 v15, 31, v14
	v_lshlrev_b64 v[12:13], 3, v[12:13]
	v_lshlrev_b64 v[16:17], 3, v[14:15]
	v_add_u32_e32 v14, 4, v22
	v_add_co_u32_e32 v24, vcc, s12, v12
	v_mad_u64_u32 v[14:15], s[0:1], v14, s29, v[2:3]
	v_addc_co_u32_e32 v25, vcc, v1, v13, vcc
	v_ashrrev_i32_e32 v15, 31, v14
	v_add_co_u32_e32 v30, vcc, s12, v16
	v_lshlrev_b64 v[20:21], 3, v[14:15]
	v_add_u32_e32 v14, -4, v22
	v_addc_co_u32_e32 v31, vcc, v1, v17, vcc
	v_mad_u64_u32 v[14:15], s[0:1], v14, s29, v[2:3]
	v_add_co_u32_e32 v32, vcc, s12, v20
	v_ashrrev_i32_e32 v15, 31, v14
	v_addc_co_u32_e32 v33, vcc, v1, v21, vcc
	v_lshlrev_b64 v[22:23], 3, v[14:15]
	v_add_co_u32_e32 v34, vcc, s12, v22
	v_addc_co_u32_e32 v35, vcc, v1, v23, vcc
	v_ashrrev_i32_e32 v1, 31, v0
	v_lshlrev_b64 v[0:1], 3, v[0:1]
	global_load_dwordx2 v[44:45], v[24:25], off
	global_load_dwordx2 v[46:47], v[30:31], off
	;; [unrolled: 1-line block ×4, first 2 shown]
	v_mov_b32_e32 v24, s17
	v_add_co_u32_e32 v40, vcc, s16, v0
	v_addc_co_u32_e32 v41, vcc, v24, v1, vcc
	global_load_dwordx2 v[24:25], v[40:41], off
	s_brev_b32 s16, 5
	s_load_dwordx4 s[24:27], s[4:5], 0x50
	s_load_dwordx2 s[34:35], s[4:5], 0x40
	s_load_dwordx4 s[0:3], s[4:5], 0x70
	s_mov_b32 s17, 0x3fc99999
	s_mov_b32 s31, 0x3fe99999
	;; [unrolled: 1-line block ×3, first 2 shown]
	s_brev_b32 s12, 6
	s_mov_b32 s13, 0x3fa374bc
	s_mov_b32 s6, 2.0
	s_mov_b32 s7, 0xbf6cac08
	v_mov_b32_e32 v53, s11
	s_waitcnt lgkmcnt(0)
	v_mov_b32_e32 v62, s25
	s_load_dwordx2 s[4:5], s[4:5], 0x60
	s_waitcnt vmcnt(7)
	v_add_f64 v[30:31], v[36:37], -v[38:39]
	s_waitcnt vmcnt(5)
	v_add_f64 v[32:33], v[26:27], -v[28:29]
	v_mul_f64 v[32:33], v[32:33], s[16:17]
	v_fma_f64 v[30:31], v[30:31], s[30:31], -v[32:33]
	s_waitcnt vmcnt(3)
	v_add_f64 v[32:33], v[44:45], -v[46:47]
	v_fmac_f64_e32 v[30:31], s[12:13], v[32:33]
	s_waitcnt vmcnt(1)
	v_add_f64 v[32:33], v[14:15], -v[18:19]
	v_fmac_f64_e32 v[30:31], s[6:7], v[32:33]
	s_waitcnt vmcnt(0)
	v_fma_f64 v[42:43], -v[30:31], s[0:1], v[24:25]
	v_add_co_u32_e32 v24, vcc, s10, v4
	v_addc_co_u32_e32 v25, vcc, v53, v5, vcc
	global_load_dwordx2 v[48:49], v[24:25], off
	v_add_co_u32_e32 v24, vcc, s24, v4
	v_addc_co_u32_e32 v25, vcc, v62, v5, vcc
	v_add_co_u32_e32 v30, vcc, s10, v6
	v_addc_co_u32_e32 v31, vcc, v53, v7, vcc
	global_load_dwordx2 v[50:51], v[30:31], off
	v_add_co_u32_e32 v30, vcc, s24, v6
	v_addc_co_u32_e32 v31, vcc, v62, v7, vcc
	v_add_co_u32_e32 v32, vcc, s10, v8
	v_addc_co_u32_e32 v33, vcc, v53, v9, vcc
	;; [unrolled: 2-line block ×3, first 2 shown]
	global_load_dwordx2 v[54:55], v[32:33], off
	v_add_co_u32_e32 v32, vcc, s10, v10
	v_addc_co_u32_e32 v33, vcc, v53, v11, vcc
	global_load_dwordx2 v[30:31], v[30:31], off
	v_add_co_u32_e32 v60, vcc, s24, v10
	global_load_dwordx2 v[24:25], v[24:25], off
	v_addc_co_u32_e32 v61, vcc, v62, v11, vcc
	global_load_dwordx2 v[58:59], v[32:33], off
	global_load_dwordx2 v[34:35], v[60:61], off
	s_nop 0
	global_load_dwordx2 v[32:33], v[56:57], off
	s_waitcnt vmcnt(4)
	v_mul_f64 v[38:39], v[38:39], v[30:31]
	global_store_dwordx2 v[40:41], v[42:43], off
	v_mul_f64 v[40:41], v[50:51], v[30:31]
	s_waitcnt vmcnt(4)
	v_fma_f64 v[48:49], v[48:49], v[24:25], -v[40:41]
	v_fma_f64 v[36:37], v[36:37], v[24:25], -v[38:39]
	s_waitcnt vmcnt(2)
	v_mul_f64 v[40:41], v[58:59], v[34:35]
	s_waitcnt vmcnt(1)
	v_fma_f64 v[50:51], v[54:55], v[32:33], -v[40:41]
	v_add_co_u32_e32 v40, vcc, s10, v12
	v_addc_co_u32_e32 v41, vcc, v53, v13, vcc
	v_add_co_u32_e32 v56, vcc, s24, v12
	v_addc_co_u32_e32 v57, vcc, v62, v13, vcc
	global_load_dwordx2 v[54:55], v[40:41], off
	v_add_co_u32_e32 v40, vcc, s10, v16
	v_addc_co_u32_e32 v41, vcc, v53, v17, vcc
	v_add_co_u32_e32 v60, vcc, s24, v16
	global_load_dwordx2 v[58:59], v[40:41], off
	v_addc_co_u32_e32 v61, vcc, v62, v17, vcc
	global_load_dwordx2 v[42:43], v[60:61], off
	global_load_dwordx2 v[40:41], v[56:57], off
	v_mul_f64 v[50:51], v[50:51], s[16:17]
	v_fma_f64 v[56:57], v[48:49], s[30:31], -v[50:51]
	v_mul_f64 v[28:29], v[28:29], v[34:35]
	v_fma_f64 v[26:27], v[26:27], v[32:33], -v[28:29]
	s_waitcnt vmcnt(1)
	v_mul_f64 v[48:49], v[58:59], v[42:43]
	s_waitcnt vmcnt(0)
	v_fma_f64 v[48:49], v[54:55], v[40:41], -v[48:49]
	v_fmac_f64_e32 v[56:57], s[12:13], v[48:49]
	v_add_co_u32_e32 v48, vcc, s10, v20
	v_addc_co_u32_e32 v49, vcc, v53, v21, vcc
	v_add_co_u32_e32 v54, vcc, s24, v20
	v_addc_co_u32_e32 v55, vcc, v62, v21, vcc
	;; [unrolled: 2-line block ×4, first 2 shown]
	global_load_dwordx2 v[60:61], v[48:49], off
	global_load_dwordx2 v[62:63], v[50:51], off
                                        ; kill: killed $vgpr50 killed $vgpr51
                                        ; kill: killed $vgpr48 killed $vgpr49
	s_nop 0
	global_load_dwordx2 v[50:51], v[58:59], off
	global_load_dwordx2 v[48:49], v[54:55], off
	v_mov_b32_e32 v53, s19
	s_waitcnt vmcnt(1)
	v_mul_f64 v[54:55], v[62:63], v[50:51]
	s_waitcnt vmcnt(0)
	v_fma_f64 v[54:55], v[60:61], v[48:49], -v[54:55]
	v_fmac_f64_e32 v[56:57], s[6:7], v[54:55]
	v_add_co_u32_e32 v54, vcc, s18, v0
	v_addc_co_u32_e32 v55, vcc, v53, v1, vcc
	global_load_dwordx2 v[58:59], v[54:55], off
	s_waitcnt lgkmcnt(0)
	v_mov_b32_e32 v53, s5
	v_add_co_u32_e32 v38, vcc, s4, v4
	v_addc_co_u32_e32 v39, vcc, v53, v5, vcc
	s_lshl_b32 s5, s28, 1
	s_waitcnt vmcnt(0)
	v_fma_f64 v[56:57], -v[56:57], s[0:1], v[58:59]
	global_store_dwordx2 v[54:55], v[56:57], off
	v_add_co_u32_e32 v54, vcc, s4, v6
	v_addc_co_u32_e32 v55, vcc, v53, v7, vcc
	global_load_dwordx2 v[56:57], v[38:39], off
	global_load_dwordx2 v[58:59], v[54:55], off
	v_add_co_u32_e32 v38, vcc, s4, v8
	v_addc_co_u32_e32 v39, vcc, v53, v9, vcc
	v_add_co_u32_e32 v54, vcc, s4, v10
	v_addc_co_u32_e32 v55, vcc, v53, v11, vcc
	global_load_dwordx2 v[60:61], v[38:39], off
	global_load_dwordx2 v[62:63], v[54:55], off
	s_waitcnt vmcnt(2)
	v_add_f64 v[38:39], v[56:57], -v[58:59]
	v_add_f64 v[36:37], v[36:37], v[38:39]
	s_waitcnt vmcnt(0)
	v_add_f64 v[28:29], v[60:61], -v[62:63]
	v_add_f64 v[26:27], v[26:27], v[28:29]
	v_mul_f64 v[26:27], v[26:27], s[16:17]
	v_fma_f64 v[26:27], v[36:37], s[30:31], -v[26:27]
	v_add_co_u32_e32 v36, vcc, s4, v12
	v_addc_co_u32_e32 v37, vcc, v53, v13, vcc
	v_add_co_u32_e32 v38, vcc, s4, v16
	v_mul_f64 v[28:29], v[46:47], v[42:43]
	v_addc_co_u32_e32 v39, vcc, v53, v17, vcc
	v_fma_f64 v[28:29], v[44:45], v[40:41], -v[28:29]
	v_add_co_u32_e32 v44, vcc, s4, v20
	v_addc_co_u32_e32 v45, vcc, v53, v21, vcc
	v_add_co_u32_e32 v46, vcc, s4, v22
	v_addc_co_u32_e32 v47, vcc, v53, v23, vcc
	global_load_dwordx2 v[54:55], v[36:37], off
	global_load_dwordx2 v[56:57], v[38:39], off
	;; [unrolled: 1-line block ×4, first 2 shown]
	v_mov_b32_e32 v37, s21
	v_add_co_u32_e32 v36, vcc, s20, v0
	v_addc_co_u32_e32 v37, vcc, v37, v1, vcc
	v_mov_b32_e32 v38, s15
	v_add_co_u32_e32 v4, vcc, s14, v4
	v_addc_co_u32_e32 v5, vcc, v38, v5, vcc
	v_add_co_u32_e32 v6, vcc, s14, v6
	v_addc_co_u32_e32 v7, vcc, v38, v7, vcc
	;; [unrolled: 2-line block ×8, first 2 shown]
	global_load_dwordx2 v[38:39], v[36:37], off
	global_load_dwordx2 v[44:45], v[6:7], off
	;; [unrolled: 1-line block ×4, first 2 shown]
                                        ; kill: killed $vgpr6 killed $vgpr7
                                        ; kill: killed $vgpr4 killed $vgpr5
                                        ; kill: killed $vgpr10 killed $vgpr11
	s_nop 0
	global_load_dwordx2 v[4:5], v[8:9], off
	global_load_dwordx2 v[6:7], v[16:17], off
	;; [unrolled: 1-line block ×3, first 2 shown]
                                        ; kill: killed $vgpr12 killed $vgpr13
                                        ; kill: killed $vgpr8 killed $vgpr9
                                        ; kill: killed $vgpr16 killed $vgpr17
	s_nop 0
	global_load_dwordx2 v[12:13], v[22:23], off
	global_load_dwordx2 v[16:17], v[20:21], off
	s_waitcnt vmcnt(11)
	v_add_f64 v[8:9], v[54:55], -v[56:57]
	v_add_f64 v[8:9], v[28:29], v[8:9]
	v_fmac_f64_e32 v[26:27], s[12:13], v[8:9]
	v_mul_f64 v[8:9], v[18:19], v[50:51]
	v_fma_f64 v[8:9], v[14:15], v[48:49], -v[8:9]
	s_waitcnt vmcnt(9)
	v_add_f64 v[10:11], v[58:59], -v[60:61]
	v_add_f64 v[8:9], v[8:9], v[10:11]
	v_fmac_f64_e32 v[26:27], s[6:7], v[8:9]
	v_mov_b32_e32 v59, s27
	v_mov_b32_e32 v60, s9
	s_waitcnt vmcnt(8)
	v_fma_f64 v[8:9], -v[26:27], s[0:1], v[38:39]
	global_store_dwordx2 v[36:37], v[8:9], off
	s_waitcnt vmcnt(8)
	v_mul_f64 v[8:9], v[30:31], v[44:45]
	s_waitcnt vmcnt(6)
	v_mul_f64 v[10:11], v[34:35], v[62:63]
	v_fma_f64 v[8:9], v[24:25], v[46:47], -v[8:9]
	s_waitcnt vmcnt(5)
	v_fma_f64 v[10:11], v[32:33], v[4:5], -v[10:11]
	s_waitcnt vmcnt(4)
	v_mul_f64 v[4:5], v[42:43], v[6:7]
	s_waitcnt vmcnt(3)
	v_fma_f64 v[6:7], v[40:41], v[64:65], -v[4:5]
	v_mul_f64 v[10:11], v[10:11], s[16:17]
	v_fma_f64 v[8:9], v[8:9], s[30:31], -v[10:11]
	v_fmac_f64_e32 v[8:9], s[12:13], v[6:7]
	s_waitcnt vmcnt(2)
	v_mul_f64 v[4:5], v[50:51], v[12:13]
	s_waitcnt vmcnt(1)
	v_fma_f64 v[4:5], v[48:49], v[16:17], -v[4:5]
	v_add_u32_e32 v16, s28, v52
	v_add_u32_e32 v12, v16, v3
	v_mad_u64_u32 v[12:13], s[10:11], v12, s29, v[2:3]
	v_ashrrev_i32_e32 v13, 31, v12
	v_lshlrev_b64 v[20:21], 3, v[12:13]
	v_subrev_u32_e32 v24, s5, v16
	v_mov_b32_e32 v52, s35
	v_add_co_u32_e32 v12, vcc, s34, v20
	v_add_u32_e32 v16, v24, v3
	v_addc_co_u32_e32 v13, vcc, v52, v21, vcc
	v_mad_u64_u32 v[16:17], s[10:11], v16, s29, v[2:3]
	v_add_co_u32_e32 v14, vcc, s26, v20
	v_ashrrev_i32_e32 v17, 31, v16
	v_addc_co_u32_e32 v15, vcc, v59, v21, vcc
	v_lshlrev_b64 v[22:23], 3, v[16:17]
	v_add_co_u32_e32 v16, vcc, s34, v22
	v_addc_co_u32_e32 v17, vcc, v52, v23, vcc
	v_add_co_u32_e32 v18, vcc, s26, v22
	v_addc_co_u32_e32 v19, vcc, v59, v23, vcc
	v_mad_u64_u32 v[28:29], s[10:11], s28, 3, v[24:25]
	v_add_co_u32_e32 v20, vcc, s4, v20
	v_add_u32_e32 v24, v28, v3
	v_addc_co_u32_e32 v21, vcc, v53, v21, vcc
	v_mad_u64_u32 v[24:25], s[10:11], v24, s29, v[2:3]
	v_add_co_u32_e32 v22, vcc, s4, v22
	v_ashrrev_i32_e32 v25, 31, v24
	s_lshl_b32 s5, s28, 2
	v_addc_co_u32_e32 v23, vcc, v53, v23, vcc
	v_lshlrev_b64 v[32:33], 3, v[24:25]
	v_subrev_u32_e32 v36, s5, v28
	v_add_co_u32_e32 v24, vcc, s34, v32
	v_add_u32_e32 v28, v36, v3
	v_addc_co_u32_e32 v25, vcc, v52, v33, vcc
	v_mad_u64_u32 v[28:29], s[10:11], v28, s29, v[2:3]
	v_add_co_u32_e32 v26, vcc, s26, v32
	v_ashrrev_i32_e32 v29, 31, v28
	v_addc_co_u32_e32 v27, vcc, v59, v33, vcc
	v_lshlrev_b64 v[34:35], 3, v[28:29]
	v_add_co_u32_e32 v28, vcc, s34, v34
	v_addc_co_u32_e32 v29, vcc, v52, v35, vcc
	v_add_co_u32_e32 v30, vcc, s26, v34
	v_addc_co_u32_e32 v31, vcc, v59, v35, vcc
	v_mad_u64_u32 v[40:41], s[10:11], s28, 5, v[36:37]
	v_add_co_u32_e32 v32, vcc, s4, v32
	v_add_u32_e32 v36, v40, v3
	v_addc_co_u32_e32 v33, vcc, v53, v33, vcc
	v_mad_u64_u32 v[36:37], s[10:11], v36, s29, v[2:3]
	v_add_co_u32_e32 v34, vcc, s4, v34
	v_ashrrev_i32_e32 v37, 31, v36
	v_addc_co_u32_e32 v35, vcc, v53, v35, vcc
	v_lshlrev_b64 v[42:43], 3, v[36:37]
	v_mad_u64_u32 v[40:41], s[10:11], s28, -6, v[40:41]
	v_add_co_u32_e32 v36, vcc, s34, v42
	v_add_u32_e32 v41, v40, v3
	v_addc_co_u32_e32 v37, vcc, v52, v43, vcc
	v_mad_u64_u32 v[44:45], s[10:11], v41, s29, v[2:3]
	v_add_co_u32_e32 v38, vcc, s26, v42
	v_ashrrev_i32_e32 v45, 31, v44
	v_addc_co_u32_e32 v39, vcc, v59, v43, vcc
	v_lshlrev_b64 v[44:45], 3, v[44:45]
	v_add_co_u32_e32 v46, vcc, s34, v44
	v_addc_co_u32_e32 v47, vcc, v52, v45, vcc
	v_add_co_u32_e32 v48, vcc, s26, v44
	v_addc_co_u32_e32 v49, vcc, v59, v45, vcc
	v_mad_u64_u32 v[40:41], s[10:11], s28, 7, v[40:41]
	v_add_co_u32_e32 v42, vcc, s4, v42
	v_add_u32_e32 v41, v40, v3
	v_addc_co_u32_e32 v43, vcc, v53, v43, vcc
	v_mad_u64_u32 v[50:51], s[10:11], v41, s29, v[2:3]
	v_add_co_u32_e32 v44, vcc, s4, v44
	v_ashrrev_i32_e32 v51, 31, v50
	s_lshl_b32 s5, s28, 3
	v_addc_co_u32_e32 v45, vcc, v53, v45, vcc
	v_lshlrev_b64 v[50:51], 3, v[50:51]
	v_subrev_u32_e32 v40, s5, v40
	v_add_co_u32_e32 v54, vcc, s34, v50
	v_add_u32_e32 v3, v40, v3
	v_addc_co_u32_e32 v55, vcc, v52, v51, vcc
	v_mad_u64_u32 v[2:3], s[10:11], v3, s29, v[2:3]
	v_add_co_u32_e32 v56, vcc, s26, v50
	v_ashrrev_i32_e32 v3, 31, v2
	v_addc_co_u32_e32 v57, vcc, v59, v51, vcc
	v_lshlrev_b64 v[2:3], 3, v[2:3]
	v_add_co_u32_e32 v40, vcc, s34, v2
	v_addc_co_u32_e32 v41, vcc, v52, v3, vcc
	v_add_co_u32_e32 v50, vcc, s4, v50
	v_addc_co_u32_e32 v51, vcc, v53, v51, vcc
	;; [unrolled: 2-line block ×4, first 2 shown]
	v_mov_b32_e32 v53, s23
	v_add_co_u32_e32 v52, vcc, s22, v0
	v_addc_co_u32_e32 v53, vcc, v53, v1, vcc
	v_add_co_u32_e32 v0, vcc, s8, v0
	v_addc_co_u32_e32 v1, vcc, v60, v1, vcc
	global_load_dwordx2 v[10:11], v[52:53], off
	global_load_dwordx2 v[60:61], v[12:13], off
	;; [unrolled: 1-line block ×3, first 2 shown]
                                        ; kill: killed $vgpr14 killed $vgpr15
                                        ; kill: killed $vgpr12 killed $vgpr13
	s_nop 0
	global_load_dwordx2 v[12:13], v[16:17], off
	global_load_dwordx2 v[14:15], v[18:19], off
                                        ; kill: killed $vgpr18 killed $vgpr19
                                        ; kill: killed $vgpr16 killed $vgpr17
	s_nop 0
	global_load_dwordx2 v[16:17], v[20:21], off
	global_load_dwordx2 v[18:19], v[22:23], off
                                        ; kill: killed $vgpr22 killed $vgpr23
                                        ; kill: killed $vgpr20 killed $vgpr21
	s_nop 0
	global_load_dwordx2 v[20:21], v[24:25], off
	global_load_dwordx2 v[22:23], v[28:29], off
                                        ; kill: killed $vgpr28 killed $vgpr29
                                        ; kill: killed $vgpr24 killed $vgpr25
	s_nop 0
	global_load_dwordx2 v[24:25], v[30:31], off
	global_load_dwordx2 v[28:29], v[26:27], off
                                        ; kill: killed $vgpr30 killed $vgpr31
                                        ; kill: killed $vgpr26 killed $vgpr27
	s_nop 0
	global_load_dwordx2 v[26:27], v[34:35], off
	global_load_dwordx2 v[30:31], v[32:33], off
                                        ; kill: killed $vgpr34 killed $vgpr35
                                        ; kill: killed $vgpr32 killed $vgpr33
	s_nop 0
	global_load_dwordx2 v[32:33], v[36:37], off
	global_load_dwordx2 v[34:35], v[46:47], off
                                        ; kill: killed $vgpr36 killed $vgpr37
                                        ; kill: killed $vgpr46 killed $vgpr47
	s_nop 0
	global_load_dwordx2 v[36:37], v[48:49], off
	global_load_dwordx2 v[46:47], v[38:39], off
                                        ; kill: killed $vgpr38 killed $vgpr39
                                        ; kill: killed $vgpr48 killed $vgpr49
	s_nop 0
	global_load_dwordx2 v[38:39], v[44:45], off
	global_load_dwordx2 v[48:49], v[42:43], off
                                        ; kill: killed $vgpr44 killed $vgpr45
                                        ; kill: killed $vgpr42 killed $vgpr43
	s_nop 0
	global_load_dwordx2 v[42:43], v[54:55], off
	global_load_dwordx2 v[44:45], v[40:41], off
                                        ; kill: killed $vgpr40 killed $vgpr41
                                        ; kill: killed $vgpr54 killed $vgpr55
	s_nop 0
	global_load_dwordx2 v[40:41], v[58:59], off
	global_load_dwordx2 v[54:55], v[56:57], off
                                        ; kill: killed $vgpr58 killed $vgpr59
                                        ; kill: killed $vgpr56 killed $vgpr57
	s_nop 0
	global_load_dwordx2 v[56:57], v[2:3], off
	global_load_dwordx2 v[58:59], v[50:51], off
	v_fmac_f64_e32 v[8:9], s[6:7], v[4:5]
	global_load_dwordx2 v[2:3], v[0:1], off
	s_waitcnt vmcnt(25)
	v_fma_f64 v[4:5], -v[8:9], s[0:1], v[10:11]
	global_store_dwordx2 v[52:53], v[4:5], off
	s_waitcnt vmcnt(22)
	v_mul_f64 v[4:5], v[12:13], v[14:15]
	v_fma_f64 v[4:5], v[60:61], v[62:63], -v[4:5]
	s_waitcnt vmcnt(20)
	v_mul_f64 v[6:7], v[14:15], v[18:19]
	v_fma_f64 v[6:7], v[62:63], v[16:17], -v[6:7]
	v_add_f64 v[4:5], v[4:5], v[6:7]
	s_waitcnt vmcnt(17)
	v_mul_f64 v[6:7], v[22:23], v[24:25]
	s_waitcnt vmcnt(16)
	v_fma_f64 v[6:7], v[20:21], v[28:29], -v[6:7]
	s_waitcnt vmcnt(15)
	v_mul_f64 v[8:9], v[24:25], v[26:27]
	s_waitcnt vmcnt(14)
	v_fma_f64 v[8:9], v[28:29], v[30:31], -v[8:9]
	v_add_f64 v[6:7], v[6:7], v[8:9]
	v_mul_f64 v[6:7], v[6:7], s[16:17]
	v_fma_f64 v[4:5], v[4:5], s[30:31], -v[6:7]
	s_waitcnt vmcnt(11)
	v_mul_f64 v[6:7], v[34:35], v[36:37]
	s_waitcnt vmcnt(10)
	v_fma_f64 v[6:7], v[32:33], v[46:47], -v[6:7]
	s_waitcnt vmcnt(9)
	v_mul_f64 v[8:9], v[36:37], v[38:39]
	s_waitcnt vmcnt(8)
	v_fma_f64 v[8:9], v[46:47], v[48:49], -v[8:9]
	v_add_f64 v[6:7], v[6:7], v[8:9]
	v_fmac_f64_e32 v[4:5], s[12:13], v[6:7]
	s_waitcnt vmcnt(5)
	v_mul_f64 v[6:7], v[44:45], v[40:41]
	s_waitcnt vmcnt(4)
	v_fma_f64 v[6:7], v[42:43], v[54:55], -v[6:7]
	s_waitcnt vmcnt(3)
	v_mul_f64 v[8:9], v[40:41], v[56:57]
	s_waitcnt vmcnt(2)
	v_fma_f64 v[8:9], v[54:55], v[58:59], -v[8:9]
	v_add_f64 v[6:7], v[6:7], v[8:9]
	v_fmac_f64_e32 v[4:5], s[6:7], v[6:7]
	s_waitcnt vmcnt(1)
	v_fma_f64 v[2:3], -v[4:5], s[2:3], v[2:3]
	global_store_dwordx2 v[0:1], v[2:3], off
.LBB1_2:
	s_endpgm
	.section	.rodata,"a",@progbits
	.p2align	6, 0x0
	.amdhsa_kernel _Z9hypterm_2PdS_S_S_S_PKdS1_S1_S1_S1_S1_S1_S1_dddiii
		.amdhsa_group_segment_fixed_size 0
		.amdhsa_private_segment_fixed_size 0
		.amdhsa_kernarg_size 400
		.amdhsa_user_sgpr_count 6
		.amdhsa_user_sgpr_private_segment_buffer 1
		.amdhsa_user_sgpr_dispatch_ptr 0
		.amdhsa_user_sgpr_queue_ptr 0
		.amdhsa_user_sgpr_kernarg_segment_ptr 1
		.amdhsa_user_sgpr_dispatch_id 0
		.amdhsa_user_sgpr_flat_scratch_init 0
		.amdhsa_user_sgpr_kernarg_preload_length 0
		.amdhsa_user_sgpr_kernarg_preload_offset 0
		.amdhsa_user_sgpr_private_segment_size 0
		.amdhsa_uses_dynamic_stack 0
		.amdhsa_system_sgpr_private_segment_wavefront_offset 0
		.amdhsa_system_sgpr_workgroup_id_x 1
		.amdhsa_system_sgpr_workgroup_id_y 1
		.amdhsa_system_sgpr_workgroup_id_z 1
		.amdhsa_system_sgpr_workgroup_info 0
		.amdhsa_system_vgpr_workitem_id 2
		.amdhsa_next_free_vgpr 66
		.amdhsa_next_free_sgpr 36
		.amdhsa_accum_offset 68
		.amdhsa_reserve_vcc 1
		.amdhsa_reserve_flat_scratch 0
		.amdhsa_float_round_mode_32 0
		.amdhsa_float_round_mode_16_64 0
		.amdhsa_float_denorm_mode_32 3
		.amdhsa_float_denorm_mode_16_64 3
		.amdhsa_dx10_clamp 1
		.amdhsa_ieee_mode 1
		.amdhsa_fp16_overflow 0
		.amdhsa_tg_split 0
		.amdhsa_exception_fp_ieee_invalid_op 0
		.amdhsa_exception_fp_denorm_src 0
		.amdhsa_exception_fp_ieee_div_zero 0
		.amdhsa_exception_fp_ieee_overflow 0
		.amdhsa_exception_fp_ieee_underflow 0
		.amdhsa_exception_fp_ieee_inexact 0
		.amdhsa_exception_int_div_zero 0
	.end_amdhsa_kernel
	.text
.Lfunc_end1:
	.size	_Z9hypterm_2PdS_S_S_S_PKdS1_S1_S1_S1_S1_S1_S1_dddiii, .Lfunc_end1-_Z9hypterm_2PdS_S_S_S_PKdS1_S1_S1_S1_S1_S1_S1_dddiii
                                        ; -- End function
	.section	.AMDGPU.csdata,"",@progbits
; Kernel info:
; codeLenInByte = 2752
; NumSgprs: 40
; NumVgprs: 66
; NumAgprs: 0
; TotalNumVgprs: 66
; ScratchSize: 0
; MemoryBound: 0
; FloatMode: 240
; IeeeMode: 1
; LDSByteSize: 0 bytes/workgroup (compile time only)
; SGPRBlocks: 4
; VGPRBlocks: 8
; NumSGPRsForWavesPerEU: 40
; NumVGPRsForWavesPerEU: 66
; AccumOffset: 68
; Occupancy: 7
; WaveLimiterHint : 0
; COMPUTE_PGM_RSRC2:SCRATCH_EN: 0
; COMPUTE_PGM_RSRC2:USER_SGPR: 6
; COMPUTE_PGM_RSRC2:TRAP_HANDLER: 0
; COMPUTE_PGM_RSRC2:TGID_X_EN: 1
; COMPUTE_PGM_RSRC2:TGID_Y_EN: 1
; COMPUTE_PGM_RSRC2:TGID_Z_EN: 1
; COMPUTE_PGM_RSRC2:TIDIG_COMP_CNT: 2
; COMPUTE_PGM_RSRC3_GFX90A:ACCUM_OFFSET: 16
; COMPUTE_PGM_RSRC3_GFX90A:TG_SPLIT: 0
	.text
	.protected	_Z9hypterm_3PdS_S_S_S_PKdS1_S1_S1_S1_S1_S1_S1_dddiii ; -- Begin function _Z9hypterm_3PdS_S_S_S_PKdS1_S1_S1_S1_S1_S1_S1_dddiii
	.globl	_Z9hypterm_3PdS_S_S_S_PKdS1_S1_S1_S1_S1_S1_S1_dddiii
	.p2align	8
	.type	_Z9hypterm_3PdS_S_S_S_PKdS1_S1_S1_S1_S1_S1_S1_dddiii,@function
_Z9hypterm_3PdS_S_S_S_PKdS1_S1_S1_S1_S1_S1_S1_dddiii: ; @_Z9hypterm_3PdS_S_S_S_PKdS1_S1_S1_S1_S1_S1_S1_dddiii
; %bb.0:
	s_load_dwordx2 s[0:1], s[4:5], 0x9c
	s_load_dwordx2 s[28:29], s[4:5], 0x84
	v_and_b32_e32 v1, 0x3ff, v0
	s_waitcnt lgkmcnt(0)
	s_lshr_b32 s2, s0, 16
	s_and_b32 s0, s0, 0xffff
	s_mul_i32 s6, s6, s0
	s_and_b32 s1, s1, 0xffff
	s_max_i32 s0, s6, 0
	s_mul_i32 s7, s7, s2
	v_add_u32_e32 v2, s0, v1
	s_max_i32 s0, s7, 0
	v_bfe_u32 v1, v0, 10, 10
	s_mul_i32 s8, s8, s1
	v_add_u32_e32 v1, s0, v1
	s_max_i32 s0, s8, 0
	v_bfe_u32 v0, v0, 20, 10
	v_add_u32_e32 v0, s0, v0
	v_min3_u32 v3, v2, v1, v0
	v_cmp_lt_u32_e32 vcc, 3, v3
	s_add_i32 s0, s29, -5
	v_max3_i32 v3, v2, v1, v0
	v_cmp_ge_i32_e64 s[0:1], s0, v3
	s_and_b64 s[0:1], s[0:1], vcc
	s_and_saveexec_b64 s[2:3], s[0:1]
	s_cbranch_execz .LBB2_2
; %bb.1:
	v_mul_lo_u32 v3, v0, s28
	v_add_u32_e32 v0, s28, v3
	v_add_u32_e32 v4, v0, v1
	s_load_dwordx2 s[6:7], s[4:5], 0x60
	s_load_dwordx4 s[24:27], s[4:5], 0x50
	s_load_dwordx2 s[30:31], s[4:5], 0x40
	s_load_dwordx8 s[16:23], s[4:5], 0x0
	s_load_dwordx8 s[8:15], s[4:5], 0x20
	s_load_dwordx4 s[0:3], s[4:5], 0x70
	v_mad_u64_u32 v[4:5], s[4:5], v4, s29, v[2:3]
	s_lshl_b32 s4, s28, 1
	v_subrev_u32_e32 v0, s4, v0
	v_ashrrev_i32_e32 v5, 31, v4
	v_add_u32_e32 v8, v0, v1
	v_lshlrev_b64 v[4:5], 3, v[4:5]
	v_mad_u64_u32 v[8:9], s[4:5], v8, s29, v[2:3]
	s_waitcnt lgkmcnt(0)
	v_add_co_u32_e32 v6, vcc, s14, v4
	v_mov_b32_e32 v36, s15
	v_ashrrev_i32_e32 v9, 31, v8
	v_addc_co_u32_e32 v7, vcc, v36, v5, vcc
	v_lshlrev_b64 v[8:9], 3, v[8:9]
	v_add_co_u32_e32 v10, vcc, s14, v8
	v_mad_u64_u32 v[14:15], s[4:5], s28, 3, v[0:1]
	v_addc_co_u32_e32 v11, vcc, v36, v9, vcc
	v_add_u32_e32 v0, v14, v1
	global_load_dwordx2 v[6:7], v[6:7], off
	s_brev_b32 s36, 5
	global_load_dwordx2 v[16:17], v[10:11], off
	v_mad_u64_u32 v[10:11], s[4:5], v0, s29, v[2:3]
	s_lshl_b32 s4, s28, 2
	v_subrev_u32_e32 v0, s4, v14
	v_ashrrev_i32_e32 v11, 31, v10
	v_add_u32_e32 v14, v0, v1
	v_lshlrev_b64 v[10:11], 3, v[10:11]
	v_mad_u64_u32 v[14:15], s[4:5], v14, s29, v[2:3]
	v_add_co_u32_e32 v12, vcc, s14, v10
	v_ashrrev_i32_e32 v15, 31, v14
	v_addc_co_u32_e32 v13, vcc, v36, v11, vcc
	v_lshlrev_b64 v[14:15], 3, v[14:15]
	v_add_co_u32_e32 v18, vcc, s14, v14
	v_addc_co_u32_e32 v19, vcc, v36, v15, vcc
	global_load_dwordx2 v[12:13], v[12:13], off
	s_mov_b32 s37, 0x3fc99999
	global_load_dwordx2 v[18:19], v[18:19], off
	v_mad_u64_u32 v[24:25], s[4:5], s28, 5, v[0:1]
	s_mov_b32 s39, 0x3fe99999
	s_mov_b32 s38, s36
	v_add_u32_e32 v0, v24, v1
	v_mad_u64_u32 v[26:27], s[4:5], s28, -6, v[24:25]
	s_brev_b32 s34, 6
	s_mov_b32 s35, 0x3fa374bc
	v_mov_b32_e32 v60, s27
	s_waitcnt vmcnt(2)
	v_add_f64 v[20:21], v[6:7], -v[16:17]
	s_waitcnt vmcnt(0)
	v_add_f64 v[22:23], v[12:13], -v[18:19]
	v_mul_f64 v[22:23], v[22:23], s[36:37]
	v_fma_f64 v[38:39], v[20:21], s[38:39], -v[22:23]
	v_mad_u64_u32 v[20:21], s[4:5], v0, s29, v[2:3]
	v_ashrrev_i32_e32 v21, 31, v20
	v_add_u32_e32 v0, v26, v1
	v_lshlrev_b64 v[20:21], 3, v[20:21]
	v_mad_u64_u32 v[24:25], s[4:5], v0, s29, v[2:3]
	v_add_co_u32_e32 v22, vcc, s14, v20
	v_ashrrev_i32_e32 v25, 31, v24
	v_addc_co_u32_e32 v23, vcc, v36, v21, vcc
	v_lshlrev_b64 v[24:25], 3, v[24:25]
	v_add_co_u32_e32 v28, vcc, s14, v24
	v_addc_co_u32_e32 v29, vcc, v36, v25, vcc
	global_load_dwordx2 v[22:23], v[22:23], off
	s_nop 0
	global_load_dwordx2 v[28:29], v[28:29], off
	s_waitcnt vmcnt(0)
	v_add_f64 v[30:31], v[22:23], -v[28:29]
	v_fmac_f64_e32 v[38:39], s[34:35], v[30:31]
	v_mad_u64_u32 v[30:31], s[4:5], s28, 7, v[26:27]
	v_add_u32_e32 v0, v30, v1
	v_mad_u64_u32 v[26:27], s[4:5], v0, s29, v[2:3]
	s_lshl_b32 s4, s28, 3
	v_subrev_u32_e32 v0, s4, v30
	v_ashrrev_i32_e32 v27, 31, v26
	v_add_u32_e32 v0, v0, v1
	v_lshlrev_b64 v[26:27], 3, v[26:27]
	v_mad_u64_u32 v[30:31], s[4:5], v0, s29, v[2:3]
	v_add_co_u32_e32 v32, vcc, s14, v26
	v_ashrrev_i32_e32 v31, 31, v30
	v_addc_co_u32_e32 v33, vcc, v36, v27, vcc
	v_lshlrev_b64 v[34:35], 3, v[30:31]
	v_add_co_u32_e32 v30, vcc, s14, v34
	v_addc_co_u32_e32 v31, vcc, v36, v35, vcc
	global_load_dwordx2 v[32:33], v[32:33], off
	s_mov_b32 s4, 2.0
	global_load_dwordx2 v[36:37], v[30:31], off
	s_mov_b32 s5, 0xbf6cac08
	v_add_u32_e32 v3, v3, v1
	s_waitcnt vmcnt(0)
	v_add_f64 v[30:31], v[32:33], -v[36:37]
	v_fmac_f64_e32 v[38:39], s[4:5], v[30:31]
	v_mad_u64_u32 v[30:31], s[14:15], v3, s29, v[2:3]
	v_ashrrev_i32_e32 v31, 31, v30
	v_lshlrev_b64 v[0:1], 3, v[30:31]
	v_add_co_u32_e32 v40, vcc, s16, v0
	v_mov_b32_e32 v31, s17
	v_addc_co_u32_e32 v41, vcc, v31, v1, vcc
	global_load_dwordx2 v[42:43], v[40:41], off
	v_mov_b32_e32 v31, s11
	s_waitcnt vmcnt(0)
	v_fma_f64 v[38:39], -v[38:39], s[2:3], v[42:43]
	global_store_dwordx2 v[40:41], v[38:39], off
	v_add_co_u32_e32 v38, vcc, s10, v4
	v_addc_co_u32_e32 v39, vcc, v31, v5, vcc
	global_load_dwordx2 v[40:41], v[38:39], off
	v_add_co_u32_e32 v38, vcc, s26, v4
	v_addc_co_u32_e32 v39, vcc, v60, v5, vcc
	v_add_co_u32_e32 v42, vcc, s10, v8
	v_addc_co_u32_e32 v43, vcc, v31, v9, vcc
	;; [unrolled: 2-line block ×3, first 2 shown]
	global_load_dwordx2 v[42:43], v[42:43], off
	s_nop 0
	global_load_dwordx2 v[46:47], v[44:45], off
	s_waitcnt vmcnt(0)
	v_mul_f64 v[42:43], v[42:43], v[46:47]
	global_load_dwordx2 v[38:39], v[38:39], off
	v_mul_f64 v[16:17], v[16:17], v[46:47]
	s_waitcnt vmcnt(0)
	v_fma_f64 v[42:43], v[40:41], v[38:39], -v[42:43]
	v_add_co_u32_e32 v40, vcc, s10, v10
	v_addc_co_u32_e32 v41, vcc, v31, v11, vcc
	global_load_dwordx2 v[44:45], v[40:41], off
	v_add_co_u32_e32 v40, vcc, s26, v10
	v_addc_co_u32_e32 v41, vcc, v60, v11, vcc
	v_add_co_u32_e32 v48, vcc, s10, v14
	v_addc_co_u32_e32 v49, vcc, v31, v15, vcc
	global_load_dwordx2 v[50:51], v[48:49], off
	v_add_co_u32_e32 v48, vcc, s26, v14
	v_addc_co_u32_e32 v49, vcc, v60, v15, vcc
	global_load_dwordx2 v[48:49], v[48:49], off
	v_fma_f64 v[16:17], v[6:7], v[38:39], -v[16:17]
	global_load_dwordx2 v[40:41], v[40:41], off
	v_mov_b32_e32 v6, s7
	v_mov_b32_e32 v7, s23
	s_waitcnt vmcnt(1)
	v_mul_f64 v[50:51], v[50:51], v[48:49]
	s_waitcnt vmcnt(0)
	v_fma_f64 v[44:45], v[44:45], v[40:41], -v[50:51]
	v_mul_f64 v[44:45], v[44:45], s[36:37]
	v_fma_f64 v[54:55], v[42:43], s[38:39], -v[44:45]
	v_add_co_u32_e32 v42, vcc, s10, v20
	v_addc_co_u32_e32 v43, vcc, v31, v21, vcc
	global_load_dwordx2 v[44:45], v[42:43], off
	v_add_co_u32_e32 v42, vcc, s26, v20
	v_addc_co_u32_e32 v43, vcc, v60, v21, vcc
	v_add_co_u32_e32 v50, vcc, s10, v24
	v_addc_co_u32_e32 v51, vcc, v31, v25, vcc
	global_load_dwordx2 v[52:53], v[50:51], off
	v_add_co_u32_e32 v50, vcc, s26, v24
	v_addc_co_u32_e32 v51, vcc, v60, v25, vcc
	global_load_dwordx2 v[50:51], v[50:51], off
	s_waitcnt vmcnt(0)
	v_mul_f64 v[52:53], v[52:53], v[50:51]
	global_load_dwordx2 v[42:43], v[42:43], off
	s_waitcnt vmcnt(0)
	v_fma_f64 v[44:45], v[44:45], v[42:43], -v[52:53]
	v_fmac_f64_e32 v[54:55], s[34:35], v[44:45]
	v_add_co_u32_e32 v44, vcc, s10, v26
	v_addc_co_u32_e32 v45, vcc, v31, v27, vcc
	global_load_dwordx2 v[56:57], v[44:45], off
	v_add_co_u32_e32 v44, vcc, s26, v26
	v_addc_co_u32_e32 v45, vcc, v60, v27, vcc
	v_add_co_u32_e32 v52, vcc, s10, v34
	v_addc_co_u32_e32 v53, vcc, v31, v35, vcc
	global_load_dwordx2 v[58:59], v[52:53], off
	v_add_co_u32_e32 v52, vcc, s26, v34
	v_addc_co_u32_e32 v53, vcc, v60, v35, vcc
	global_load_dwordx2 v[52:53], v[52:53], off
	v_mov_b32_e32 v31, s19
	global_load_dwordx2 v[44:45], v[44:45], off
	s_waitcnt vmcnt(1)
	v_mul_f64 v[58:59], v[58:59], v[52:53]
	s_waitcnt vmcnt(0)
	v_fma_f64 v[56:57], v[56:57], v[44:45], -v[58:59]
	v_fmac_f64_e32 v[54:55], s[4:5], v[56:57]
	v_add_co_u32_e32 v56, vcc, s18, v0
	v_addc_co_u32_e32 v57, vcc, v31, v1, vcc
	global_load_dwordx2 v[58:59], v[56:57], off
	v_mov_b32_e32 v31, s13
	s_waitcnt vmcnt(0)
	v_fma_f64 v[54:55], -v[54:55], s[2:3], v[58:59]
	global_store_dwordx2 v[56:57], v[54:55], off
	v_add_co_u32_e32 v54, vcc, s12, v4
	v_addc_co_u32_e32 v55, vcc, v31, v5, vcc
	v_add_co_u32_e32 v56, vcc, s12, v8
	v_addc_co_u32_e32 v57, vcc, v31, v9, vcc
	global_load_dwordx2 v[54:55], v[54:55], off
	s_nop 0
	global_load_dwordx2 v[56:57], v[56:57], off
	s_waitcnt vmcnt(0)
	v_mul_f64 v[56:57], v[46:47], v[56:57]
	v_fma_f64 v[54:55], v[38:39], v[54:55], -v[56:57]
	v_add_co_u32_e32 v56, vcc, s12, v10
	v_addc_co_u32_e32 v57, vcc, v31, v11, vcc
	v_add_co_u32_e32 v58, vcc, s12, v14
	v_addc_co_u32_e32 v59, vcc, v31, v15, vcc
	global_load_dwordx2 v[56:57], v[56:57], off
	s_nop 0
	global_load_dwordx2 v[58:59], v[58:59], off
	s_waitcnt vmcnt(0)
	v_mul_f64 v[58:59], v[48:49], v[58:59]
	v_fma_f64 v[56:57], v[40:41], v[56:57], -v[58:59]
	v_mul_f64 v[56:57], v[56:57], s[36:37]
	v_fma_f64 v[54:55], v[54:55], s[38:39], -v[56:57]
	v_add_co_u32_e32 v56, vcc, s12, v20
	v_addc_co_u32_e32 v57, vcc, v31, v21, vcc
	v_add_co_u32_e32 v58, vcc, s12, v24
	v_addc_co_u32_e32 v59, vcc, v31, v25, vcc
	global_load_dwordx2 v[56:57], v[56:57], off
	s_nop 0
	global_load_dwordx2 v[58:59], v[58:59], off
	s_waitcnt vmcnt(0)
	v_mul_f64 v[58:59], v[50:51], v[58:59]
	v_fma_f64 v[56:57], v[42:43], v[56:57], -v[58:59]
	v_fmac_f64_e32 v[54:55], s[34:35], v[56:57]
	v_add_co_u32_e32 v56, vcc, s12, v26
	v_addc_co_u32_e32 v57, vcc, v31, v27, vcc
	v_add_co_u32_e32 v58, vcc, s12, v34
	v_addc_co_u32_e32 v59, vcc, v31, v35, vcc
	global_load_dwordx2 v[56:57], v[56:57], off
	v_mov_b32_e32 v31, s21
	global_load_dwordx2 v[58:59], v[58:59], off
	s_waitcnt vmcnt(0)
	v_mul_f64 v[58:59], v[52:53], v[58:59]
	v_fma_f64 v[56:57], v[44:45], v[56:57], -v[58:59]
	v_fmac_f64_e32 v[54:55], s[4:5], v[56:57]
	v_add_co_u32_e32 v56, vcc, s20, v0
	v_addc_co_u32_e32 v57, vcc, v31, v1, vcc
	v_add_co_u32_e32 v4, vcc, s6, v4
	v_addc_co_u32_e32 v5, vcc, v6, v5, vcc
	;; [unrolled: 2-line block ×3, first 2 shown]
	global_load_dwordx2 v[4:5], v[4:5], off
	v_add_co_u32_e32 v10, vcc, s6, v10
	global_load_dwordx2 v[8:9], v[8:9], off
	v_addc_co_u32_e32 v11, vcc, v6, v11, vcc
	global_load_dwordx2 v[10:11], v[10:11], off
	s_waitcnt vmcnt(1)
	v_add_f64 v[4:5], v[4:5], -v[8:9]
	v_mul_f64 v[8:9], v[18:19], v[48:49]
	v_fma_f64 v[8:9], v[12:13], v[40:41], -v[8:9]
	v_add_co_u32_e32 v12, vcc, s6, v14
	v_addc_co_u32_e32 v13, vcc, v6, v15, vcc
	global_load_dwordx2 v[12:13], v[12:13], off
	v_add_f64 v[4:5], v[16:17], v[4:5]
	global_load_dwordx2 v[58:59], v[56:57], off
	s_waitcnt vmcnt(1)
	v_add_f64 v[10:11], v[10:11], -v[12:13]
	v_add_f64 v[8:9], v[8:9], v[10:11]
	v_add_co_u32_e32 v10, vcc, s6, v20
	v_addc_co_u32_e32 v11, vcc, v6, v21, vcc
	v_add_co_u32_e32 v12, vcc, s6, v24
	v_addc_co_u32_e32 v13, vcc, v6, v25, vcc
	global_load_dwordx2 v[10:11], v[10:11], off
	v_mul_f64 v[8:9], v[8:9], s[36:37]
	global_load_dwordx2 v[12:13], v[12:13], off
	v_fma_f64 v[4:5], v[4:5], s[38:39], -v[8:9]
	v_mul_f64 v[8:9], v[28:29], v[50:51]
	v_fma_f64 v[8:9], v[22:23], v[42:43], -v[8:9]
	s_waitcnt vmcnt(2)
	v_fma_f64 v[54:55], -v[54:55], s[2:3], v[58:59]
	v_mov_b32_e32 v20, s25
	global_store_dwordx2 v[56:57], v[54:55], off
	s_waitcnt vmcnt(1)
	v_add_f64 v[10:11], v[10:11], -v[12:13]
	v_add_f64 v[8:9], v[8:9], v[10:11]
	v_add_co_u32_e32 v10, vcc, s6, v26
	v_addc_co_u32_e32 v11, vcc, v6, v27, vcc
	v_add_co_u32_e32 v12, vcc, s6, v34
	v_addc_co_u32_e32 v13, vcc, v6, v35, vcc
	global_load_dwordx2 v[10:11], v[10:11], off
	v_fmac_f64_e32 v[4:5], s[34:35], v[8:9]
	global_load_dwordx2 v[12:13], v[12:13], off
	v_mul_f64 v[8:9], v[36:37], v[52:53]
	v_fma_f64 v[8:9], v[32:33], v[44:45], -v[8:9]
	s_waitcnt vmcnt(0)
	v_add_f64 v[10:11], v[10:11], -v[12:13]
	v_add_f64 v[8:9], v[8:9], v[10:11]
	v_fmac_f64_e32 v[4:5], s[4:5], v[8:9]
	v_add_co_u32_e32 v8, vcc, s22, v0
	v_addc_co_u32_e32 v9, vcc, v7, v1, vcc
	global_load_dwordx2 v[10:11], v[8:9], off
	v_mov_b32_e32 v7, s31
	v_add_u32_e32 v12, -1, v3
	s_waitcnt vmcnt(0)
	v_fma_f64 v[4:5], -v[4:5], s[2:3], v[10:11]
	global_store_dwordx2 v[8:9], v[4:5], off
	v_add_u32_e32 v4, s29, v30
	v_ashrrev_i32_e32 v5, 31, v4
	v_lshlrev_b64 v[4:5], 3, v[4:5]
	v_add_co_u32_e32 v8, vcc, s30, v4
	v_addc_co_u32_e32 v9, vcc, v7, v5, vcc
	v_mad_u64_u32 v[12:13], s[2:3], v12, s29, v[2:3]
	v_add_co_u32_e32 v10, vcc, s24, v4
	v_ashrrev_i32_e32 v13, 31, v12
	v_addc_co_u32_e32 v11, vcc, v20, v5, vcc
	v_lshlrev_b64 v[12:13], 3, v[12:13]
	v_add_co_u32_e32 v14, vcc, s30, v12
	v_addc_co_u32_e32 v15, vcc, v7, v13, vcc
	v_add_co_u32_e32 v16, vcc, s24, v12
	v_addc_co_u32_e32 v17, vcc, v20, v13, vcc
	;; [unrolled: 2-line block ×4, first 2 shown]
	global_load_dwordx2 v[14:15], v[14:15], off
	s_nop 0
	global_load_dwordx2 v[16:17], v[16:17], off
	s_waitcnt vmcnt(0)
	v_mul_f64 v[14:15], v[14:15], v[16:17]
	global_load_dwordx2 v[12:13], v[12:13], off
	s_waitcnt vmcnt(0)
	v_mul_f64 v[12:13], v[16:17], v[12:13]
	global_load_dwordx2 v[8:9], v[8:9], off
	s_nop 0
	global_load_dwordx2 v[10:11], v[10:11], off
	s_waitcnt vmcnt(0)
	v_fma_f64 v[8:9], v[8:9], v[10:11], -v[14:15]
	global_load_dwordx2 v[4:5], v[4:5], off
	v_add_u32_e32 v14, -2, v3
	v_mad_u64_u32 v[14:15], s[2:3], v14, s29, v[2:3]
	v_ashrrev_i32_e32 v15, 31, v14
	v_lshlrev_b64 v[14:15], 3, v[14:15]
	s_waitcnt vmcnt(0)
	v_fma_f64 v[4:5], v[10:11], v[4:5], -v[12:13]
	v_add_f64 v[4:5], v[8:9], v[4:5]
	v_add_u32_e32 v8, 2, v3
	v_mad_u64_u32 v[8:9], s[2:3], v8, s29, v[2:3]
	v_ashrrev_i32_e32 v9, 31, v8
	v_lshlrev_b64 v[8:9], 3, v[8:9]
	v_add_co_u32_e32 v10, vcc, s30, v8
	v_addc_co_u32_e32 v11, vcc, v7, v9, vcc
	v_add_co_u32_e32 v12, vcc, s24, v8
	v_addc_co_u32_e32 v13, vcc, v20, v9, vcc
	;; [unrolled: 2-line block ×6, first 2 shown]
	global_load_dwordx2 v[16:17], v[16:17], off
	s_nop 0
	global_load_dwordx2 v[18:19], v[18:19], off
	s_waitcnt vmcnt(0)
	v_mul_f64 v[16:17], v[16:17], v[18:19]
	global_load_dwordx2 v[14:15], v[14:15], off
	s_waitcnt vmcnt(0)
	v_mul_f64 v[14:15], v[18:19], v[14:15]
	global_load_dwordx2 v[10:11], v[10:11], off
	s_nop 0
	global_load_dwordx2 v[12:13], v[12:13], off
	s_waitcnt vmcnt(0)
	v_fma_f64 v[10:11], v[10:11], v[12:13], -v[16:17]
	global_load_dwordx2 v[8:9], v[8:9], off
	s_waitcnt vmcnt(0)
	v_fma_f64 v[8:9], v[12:13], v[8:9], -v[14:15]
	v_add_f64 v[8:9], v[10:11], v[8:9]
	v_mul_f64 v[8:9], v[8:9], s[36:37]
	v_fma_f64 v[4:5], v[4:5], s[38:39], -v[8:9]
	v_add_u32_e32 v8, 3, v3
	v_mad_u64_u32 v[8:9], s[2:3], v8, s29, v[2:3]
	v_ashrrev_i32_e32 v9, 31, v8
	v_lshlrev_b64 v[8:9], 3, v[8:9]
	v_add_co_u32_e32 v10, vcc, s30, v8
	v_add_u32_e32 v14, -3, v3
	v_addc_co_u32_e32 v11, vcc, v7, v9, vcc
	v_mad_u64_u32 v[14:15], s[2:3], v14, s29, v[2:3]
	v_add_co_u32_e32 v12, vcc, s24, v8
	v_ashrrev_i32_e32 v15, 31, v14
	v_addc_co_u32_e32 v13, vcc, v20, v9, vcc
	v_lshlrev_b64 v[14:15], 3, v[14:15]
	v_add_co_u32_e32 v16, vcc, s30, v14
	v_addc_co_u32_e32 v17, vcc, v7, v15, vcc
	v_add_co_u32_e32 v18, vcc, s24, v14
	v_addc_co_u32_e32 v19, vcc, v20, v15, vcc
	;; [unrolled: 2-line block ×4, first 2 shown]
	global_load_dwordx2 v[16:17], v[16:17], off
	s_nop 0
	global_load_dwordx2 v[18:19], v[18:19], off
	s_waitcnt vmcnt(0)
	v_mul_f64 v[16:17], v[16:17], v[18:19]
	global_load_dwordx2 v[14:15], v[14:15], off
	s_waitcnt vmcnt(0)
	v_mul_f64 v[14:15], v[18:19], v[14:15]
	global_load_dwordx2 v[10:11], v[10:11], off
	s_nop 0
	global_load_dwordx2 v[12:13], v[12:13], off
	s_waitcnt vmcnt(0)
	v_fma_f64 v[10:11], v[10:11], v[12:13], -v[16:17]
	global_load_dwordx2 v[8:9], v[8:9], off
	s_waitcnt vmcnt(0)
	v_fma_f64 v[8:9], v[12:13], v[8:9], -v[14:15]
	v_add_f64 v[8:9], v[10:11], v[8:9]
	v_fmac_f64_e32 v[4:5], s[34:35], v[8:9]
	v_add_u32_e32 v8, 4, v3
	v_mad_u64_u32 v[8:9], s[2:3], v8, s29, v[2:3]
	v_ashrrev_i32_e32 v9, 31, v8
	v_lshlrev_b64 v[8:9], 3, v[8:9]
	v_add_co_u32_e32 v10, vcc, s30, v8
	v_add_u32_e32 v3, -4, v3
	v_addc_co_u32_e32 v11, vcc, v7, v9, vcc
	v_mad_u64_u32 v[2:3], s[2:3], v3, s29, v[2:3]
	v_add_co_u32_e32 v12, vcc, s24, v8
	v_ashrrev_i32_e32 v3, 31, v2
	v_addc_co_u32_e32 v13, vcc, v20, v9, vcc
	v_lshlrev_b64 v[2:3], 3, v[2:3]
	v_add_co_u32_e32 v14, vcc, s30, v2
	v_addc_co_u32_e32 v15, vcc, v7, v3, vcc
	v_add_co_u32_e32 v16, vcc, s24, v2
	v_addc_co_u32_e32 v17, vcc, v20, v3, vcc
	;; [unrolled: 2-line block ×4, first 2 shown]
	global_load_dwordx2 v[14:15], v[14:15], off
	v_add_co_u32_e32 v0, vcc, s8, v0
	global_load_dwordx2 v[16:17], v[16:17], off
	s_waitcnt vmcnt(0)
	v_mul_f64 v[14:15], v[14:15], v[16:17]
	global_load_dwordx2 v[8:9], v[8:9], off
	s_nop 0
	global_load_dwordx2 v[2:3], v[2:3], off
	s_waitcnt vmcnt(0)
	v_mul_f64 v[2:3], v[16:17], v[2:3]
	global_load_dwordx2 v[10:11], v[10:11], off
	s_nop 0
	global_load_dwordx2 v[12:13], v[12:13], off
	s_waitcnt vmcnt(0)
	v_fma_f64 v[10:11], v[10:11], v[12:13], -v[14:15]
	v_fma_f64 v[2:3], v[12:13], v[8:9], -v[2:3]
	v_add_f64 v[2:3], v[10:11], v[2:3]
	v_fmac_f64_e32 v[4:5], s[4:5], v[2:3]
	v_mov_b32_e32 v2, s9
	v_addc_co_u32_e32 v1, vcc, v2, v1, vcc
	global_load_dwordx2 v[2:3], v[0:1], off
	s_waitcnt vmcnt(0)
	v_fma_f64 v[2:3], -v[4:5], s[0:1], v[2:3]
	global_store_dwordx2 v[0:1], v[2:3], off
.LBB2_2:
	s_endpgm
	.section	.rodata,"a",@progbits
	.p2align	6, 0x0
	.amdhsa_kernel _Z9hypterm_3PdS_S_S_S_PKdS1_S1_S1_S1_S1_S1_S1_dddiii
		.amdhsa_group_segment_fixed_size 0
		.amdhsa_private_segment_fixed_size 0
		.amdhsa_kernarg_size 400
		.amdhsa_user_sgpr_count 6
		.amdhsa_user_sgpr_private_segment_buffer 1
		.amdhsa_user_sgpr_dispatch_ptr 0
		.amdhsa_user_sgpr_queue_ptr 0
		.amdhsa_user_sgpr_kernarg_segment_ptr 1
		.amdhsa_user_sgpr_dispatch_id 0
		.amdhsa_user_sgpr_flat_scratch_init 0
		.amdhsa_user_sgpr_kernarg_preload_length 0
		.amdhsa_user_sgpr_kernarg_preload_offset 0
		.amdhsa_user_sgpr_private_segment_size 0
		.amdhsa_uses_dynamic_stack 0
		.amdhsa_system_sgpr_private_segment_wavefront_offset 0
		.amdhsa_system_sgpr_workgroup_id_x 1
		.amdhsa_system_sgpr_workgroup_id_y 1
		.amdhsa_system_sgpr_workgroup_id_z 1
		.amdhsa_system_sgpr_workgroup_info 0
		.amdhsa_system_vgpr_workitem_id 2
		.amdhsa_next_free_vgpr 61
		.amdhsa_next_free_sgpr 40
		.amdhsa_accum_offset 64
		.amdhsa_reserve_vcc 1
		.amdhsa_reserve_flat_scratch 0
		.amdhsa_float_round_mode_32 0
		.amdhsa_float_round_mode_16_64 0
		.amdhsa_float_denorm_mode_32 3
		.amdhsa_float_denorm_mode_16_64 3
		.amdhsa_dx10_clamp 1
		.amdhsa_ieee_mode 1
		.amdhsa_fp16_overflow 0
		.amdhsa_tg_split 0
		.amdhsa_exception_fp_ieee_invalid_op 0
		.amdhsa_exception_fp_denorm_src 0
		.amdhsa_exception_fp_ieee_div_zero 0
		.amdhsa_exception_fp_ieee_overflow 0
		.amdhsa_exception_fp_ieee_underflow 0
		.amdhsa_exception_fp_ieee_inexact 0
		.amdhsa_exception_int_div_zero 0
	.end_amdhsa_kernel
	.text
.Lfunc_end2:
	.size	_Z9hypterm_3PdS_S_S_S_PKdS1_S1_S1_S1_S1_S1_S1_dddiii, .Lfunc_end2-_Z9hypterm_3PdS_S_S_S_PKdS1_S1_S1_S1_S1_S1_S1_dddiii
                                        ; -- End function
	.section	.AMDGPU.csdata,"",@progbits
; Kernel info:
; codeLenInByte = 2728
; NumSgprs: 44
; NumVgprs: 61
; NumAgprs: 0
; TotalNumVgprs: 61
; ScratchSize: 0
; MemoryBound: 0
; FloatMode: 240
; IeeeMode: 1
; LDSByteSize: 0 bytes/workgroup (compile time only)
; SGPRBlocks: 5
; VGPRBlocks: 7
; NumSGPRsForWavesPerEU: 44
; NumVGPRsForWavesPerEU: 61
; AccumOffset: 64
; Occupancy: 8
; WaveLimiterHint : 0
; COMPUTE_PGM_RSRC2:SCRATCH_EN: 0
; COMPUTE_PGM_RSRC2:USER_SGPR: 6
; COMPUTE_PGM_RSRC2:TRAP_HANDLER: 0
; COMPUTE_PGM_RSRC2:TGID_X_EN: 1
; COMPUTE_PGM_RSRC2:TGID_Y_EN: 1
; COMPUTE_PGM_RSRC2:TGID_Z_EN: 1
; COMPUTE_PGM_RSRC2:TIDIG_COMP_CNT: 2
; COMPUTE_PGM_RSRC3_GFX90A:ACCUM_OFFSET: 15
; COMPUTE_PGM_RSRC3_GFX90A:TG_SPLIT: 0
	.text
	.p2alignl 6, 3212836864
	.fill 256, 4, 3212836864
	.type	__hip_cuid_f63ddcc44ea1f3f3,@object ; @__hip_cuid_f63ddcc44ea1f3f3
	.section	.bss,"aw",@nobits
	.globl	__hip_cuid_f63ddcc44ea1f3f3
__hip_cuid_f63ddcc44ea1f3f3:
	.byte	0                               ; 0x0
	.size	__hip_cuid_f63ddcc44ea1f3f3, 1

	.ident	"AMD clang version 19.0.0git (https://github.com/RadeonOpenCompute/llvm-project roc-6.4.0 25133 c7fe45cf4b819c5991fe208aaa96edf142730f1d)"
	.section	".note.GNU-stack","",@progbits
	.addrsig
	.addrsig_sym __hip_cuid_f63ddcc44ea1f3f3
	.amdgpu_metadata
---
amdhsa.kernels:
  - .agpr_count:     0
    .args:
      - .actual_access:  write_only
        .address_space:  global
        .offset:         0
        .size:           8
        .value_kind:     global_buffer
      - .actual_access:  write_only
        .address_space:  global
        .offset:         8
        .size:           8
        .value_kind:     global_buffer
      - .actual_access:  write_only
        .address_space:  global
        .offset:         16
        .size:           8
        .value_kind:     global_buffer
      - .actual_access:  write_only
        .address_space:  global
        .offset:         24
        .size:           8
        .value_kind:     global_buffer
      - .actual_access:  write_only
        .address_space:  global
        .offset:         32
        .size:           8
        .value_kind:     global_buffer
      - .actual_access:  read_only
        .address_space:  global
        .offset:         40
        .size:           8
        .value_kind:     global_buffer
      - .actual_access:  read_only
        .address_space:  global
        .offset:         48
        .size:           8
        .value_kind:     global_buffer
      - .actual_access:  read_only
        .address_space:  global
        .offset:         56
        .size:           8
        .value_kind:     global_buffer
      - .actual_access:  read_only
        .address_space:  global
        .offset:         64
        .size:           8
        .value_kind:     global_buffer
      - .actual_access:  read_only
        .address_space:  global
        .offset:         72
        .size:           8
        .value_kind:     global_buffer
      - .actual_access:  read_only
        .address_space:  global
        .offset:         80
        .size:           8
        .value_kind:     global_buffer
      - .actual_access:  read_only
        .address_space:  global
        .offset:         88
        .size:           8
        .value_kind:     global_buffer
      - .actual_access:  read_only
        .address_space:  global
        .offset:         96
        .size:           8
        .value_kind:     global_buffer
      - .offset:         104
        .size:           8
        .value_kind:     by_value
      - .offset:         112
        .size:           8
        .value_kind:     by_value
      - .offset:         120
        .size:           8
        .value_kind:     by_value
      - .offset:         128
        .size:           4
        .value_kind:     by_value
      - .offset:         132
        .size:           4
        .value_kind:     by_value
      - .offset:         136
        .size:           4
        .value_kind:     by_value
      - .offset:         144
        .size:           4
        .value_kind:     hidden_block_count_x
      - .offset:         148
        .size:           4
        .value_kind:     hidden_block_count_y
      - .offset:         152
        .size:           4
        .value_kind:     hidden_block_count_z
      - .offset:         156
        .size:           2
        .value_kind:     hidden_group_size_x
      - .offset:         158
        .size:           2
        .value_kind:     hidden_group_size_y
      - .offset:         160
        .size:           2
        .value_kind:     hidden_group_size_z
      - .offset:         162
        .size:           2
        .value_kind:     hidden_remainder_x
      - .offset:         164
        .size:           2
        .value_kind:     hidden_remainder_y
      - .offset:         166
        .size:           2
        .value_kind:     hidden_remainder_z
      - .offset:         184
        .size:           8
        .value_kind:     hidden_global_offset_x
      - .offset:         192
        .size:           8
        .value_kind:     hidden_global_offset_y
      - .offset:         200
        .size:           8
        .value_kind:     hidden_global_offset_z
      - .offset:         208
        .size:           2
        .value_kind:     hidden_grid_dims
    .group_segment_fixed_size: 0
    .kernarg_segment_align: 8
    .kernarg_segment_size: 400
    .language:       OpenCL C
    .language_version:
      - 2
      - 0
    .max_flat_workgroup_size: 1024
    .name:           _Z9hypterm_1PdS_S_S_S_PKdS1_S1_S1_S1_S1_S1_S1_dddiii
    .private_segment_fixed_size: 0
    .sgpr_count:     32
    .sgpr_spill_count: 0
    .symbol:         _Z9hypterm_1PdS_S_S_S_PKdS1_S1_S1_S1_S1_S1_S1_dddiii.kd
    .uniform_work_group_size: 1
    .uses_dynamic_stack: false
    .vgpr_count:     64
    .vgpr_spill_count: 0
    .wavefront_size: 64
  - .agpr_count:     0
    .args:
      - .address_space:  global
        .offset:         0
        .size:           8
        .value_kind:     global_buffer
      - .address_space:  global
        .offset:         8
        .size:           8
        .value_kind:     global_buffer
      - .address_space:  global
        .offset:         16
        .size:           8
        .value_kind:     global_buffer
      - .address_space:  global
        .offset:         24
        .size:           8
        .value_kind:     global_buffer
      - .address_space:  global
        .offset:         32
        .size:           8
        .value_kind:     global_buffer
      - .actual_access:  read_only
        .address_space:  global
        .offset:         40
        .size:           8
        .value_kind:     global_buffer
      - .actual_access:  read_only
        .address_space:  global
        .offset:         48
        .size:           8
        .value_kind:     global_buffer
      - .actual_access:  read_only
        .address_space:  global
        .offset:         56
        .size:           8
        .value_kind:     global_buffer
      - .actual_access:  read_only
        .address_space:  global
        .offset:         64
        .size:           8
        .value_kind:     global_buffer
      - .actual_access:  read_only
        .address_space:  global
        .offset:         72
        .size:           8
        .value_kind:     global_buffer
      - .actual_access:  read_only
        .address_space:  global
        .offset:         80
        .size:           8
        .value_kind:     global_buffer
      - .actual_access:  read_only
        .address_space:  global
        .offset:         88
        .size:           8
        .value_kind:     global_buffer
      - .actual_access:  read_only
        .address_space:  global
        .offset:         96
        .size:           8
        .value_kind:     global_buffer
      - .offset:         104
        .size:           8
        .value_kind:     by_value
      - .offset:         112
        .size:           8
        .value_kind:     by_value
      - .offset:         120
        .size:           8
        .value_kind:     by_value
      - .offset:         128
        .size:           4
        .value_kind:     by_value
      - .offset:         132
        .size:           4
        .value_kind:     by_value
      - .offset:         136
        .size:           4
        .value_kind:     by_value
      - .offset:         144
        .size:           4
        .value_kind:     hidden_block_count_x
      - .offset:         148
        .size:           4
        .value_kind:     hidden_block_count_y
      - .offset:         152
        .size:           4
        .value_kind:     hidden_block_count_z
      - .offset:         156
        .size:           2
        .value_kind:     hidden_group_size_x
      - .offset:         158
        .size:           2
        .value_kind:     hidden_group_size_y
      - .offset:         160
        .size:           2
        .value_kind:     hidden_group_size_z
      - .offset:         162
        .size:           2
        .value_kind:     hidden_remainder_x
      - .offset:         164
        .size:           2
        .value_kind:     hidden_remainder_y
      - .offset:         166
        .size:           2
        .value_kind:     hidden_remainder_z
      - .offset:         184
        .size:           8
        .value_kind:     hidden_global_offset_x
      - .offset:         192
        .size:           8
        .value_kind:     hidden_global_offset_y
      - .offset:         200
        .size:           8
        .value_kind:     hidden_global_offset_z
      - .offset:         208
        .size:           2
        .value_kind:     hidden_grid_dims
    .group_segment_fixed_size: 0
    .kernarg_segment_align: 8
    .kernarg_segment_size: 400
    .language:       OpenCL C
    .language_version:
      - 2
      - 0
    .max_flat_workgroup_size: 1024
    .name:           _Z9hypterm_2PdS_S_S_S_PKdS1_S1_S1_S1_S1_S1_S1_dddiii
    .private_segment_fixed_size: 0
    .sgpr_count:     40
    .sgpr_spill_count: 0
    .symbol:         _Z9hypterm_2PdS_S_S_S_PKdS1_S1_S1_S1_S1_S1_S1_dddiii.kd
    .uniform_work_group_size: 1
    .uses_dynamic_stack: false
    .vgpr_count:     66
    .vgpr_spill_count: 0
    .wavefront_size: 64
  - .agpr_count:     0
    .args:
      - .address_space:  global
        .offset:         0
        .size:           8
        .value_kind:     global_buffer
      - .address_space:  global
        .offset:         8
        .size:           8
        .value_kind:     global_buffer
      - .address_space:  global
        .offset:         16
        .size:           8
        .value_kind:     global_buffer
      - .address_space:  global
        .offset:         24
        .size:           8
        .value_kind:     global_buffer
      - .address_space:  global
        .offset:         32
        .size:           8
        .value_kind:     global_buffer
      - .actual_access:  read_only
        .address_space:  global
        .offset:         40
        .size:           8
        .value_kind:     global_buffer
      - .actual_access:  read_only
        .address_space:  global
        .offset:         48
        .size:           8
        .value_kind:     global_buffer
      - .actual_access:  read_only
        .address_space:  global
        .offset:         56
        .size:           8
        .value_kind:     global_buffer
      - .actual_access:  read_only
        .address_space:  global
        .offset:         64
        .size:           8
        .value_kind:     global_buffer
      - .actual_access:  read_only
        .address_space:  global
        .offset:         72
        .size:           8
        .value_kind:     global_buffer
      - .actual_access:  read_only
        .address_space:  global
        .offset:         80
        .size:           8
        .value_kind:     global_buffer
      - .actual_access:  read_only
        .address_space:  global
        .offset:         88
        .size:           8
        .value_kind:     global_buffer
      - .actual_access:  read_only
        .address_space:  global
        .offset:         96
        .size:           8
        .value_kind:     global_buffer
      - .offset:         104
        .size:           8
        .value_kind:     by_value
      - .offset:         112
        .size:           8
        .value_kind:     by_value
      - .offset:         120
        .size:           8
        .value_kind:     by_value
      - .offset:         128
        .size:           4
        .value_kind:     by_value
      - .offset:         132
        .size:           4
        .value_kind:     by_value
      - .offset:         136
        .size:           4
        .value_kind:     by_value
      - .offset:         144
        .size:           4
        .value_kind:     hidden_block_count_x
      - .offset:         148
        .size:           4
        .value_kind:     hidden_block_count_y
      - .offset:         152
        .size:           4
        .value_kind:     hidden_block_count_z
      - .offset:         156
        .size:           2
        .value_kind:     hidden_group_size_x
      - .offset:         158
        .size:           2
        .value_kind:     hidden_group_size_y
      - .offset:         160
        .size:           2
        .value_kind:     hidden_group_size_z
      - .offset:         162
        .size:           2
        .value_kind:     hidden_remainder_x
      - .offset:         164
        .size:           2
        .value_kind:     hidden_remainder_y
      - .offset:         166
        .size:           2
        .value_kind:     hidden_remainder_z
      - .offset:         184
        .size:           8
        .value_kind:     hidden_global_offset_x
      - .offset:         192
        .size:           8
        .value_kind:     hidden_global_offset_y
      - .offset:         200
        .size:           8
        .value_kind:     hidden_global_offset_z
      - .offset:         208
        .size:           2
        .value_kind:     hidden_grid_dims
    .group_segment_fixed_size: 0
    .kernarg_segment_align: 8
    .kernarg_segment_size: 400
    .language:       OpenCL C
    .language_version:
      - 2
      - 0
    .max_flat_workgroup_size: 1024
    .name:           _Z9hypterm_3PdS_S_S_S_PKdS1_S1_S1_S1_S1_S1_S1_dddiii
    .private_segment_fixed_size: 0
    .sgpr_count:     44
    .sgpr_spill_count: 0
    .symbol:         _Z9hypterm_3PdS_S_S_S_PKdS1_S1_S1_S1_S1_S1_S1_dddiii.kd
    .uniform_work_group_size: 1
    .uses_dynamic_stack: false
    .vgpr_count:     61
    .vgpr_spill_count: 0
    .wavefront_size: 64
amdhsa.target:   amdgcn-amd-amdhsa--gfx90a
amdhsa.version:
  - 1
  - 2
...

	.end_amdgpu_metadata
